;; amdgpu-corpus repo=ROCm/rocFFT kind=compiled arch=gfx950 opt=O3
	.text
	.amdgcn_target "amdgcn-amd-amdhsa--gfx950"
	.amdhsa_code_object_version 6
	.protected	fft_rtc_back_len176_factors_11_16_wgs_64_tpt_16_halfLds_sp_ip_CI_unitstride_sbrr_R2C_dirReg ; -- Begin function fft_rtc_back_len176_factors_11_16_wgs_64_tpt_16_halfLds_sp_ip_CI_unitstride_sbrr_R2C_dirReg
	.globl	fft_rtc_back_len176_factors_11_16_wgs_64_tpt_16_halfLds_sp_ip_CI_unitstride_sbrr_R2C_dirReg
	.p2align	8
	.type	fft_rtc_back_len176_factors_11_16_wgs_64_tpt_16_halfLds_sp_ip_CI_unitstride_sbrr_R2C_dirReg,@function
fft_rtc_back_len176_factors_11_16_wgs_64_tpt_16_halfLds_sp_ip_CI_unitstride_sbrr_R2C_dirReg: ; @fft_rtc_back_len176_factors_11_16_wgs_64_tpt_16_halfLds_sp_ip_CI_unitstride_sbrr_R2C_dirReg
; %bb.0:
	s_load_dwordx2 s[8:9], s[0:1], 0x50
	s_load_dwordx4 s[4:7], s[0:1], 0x0
	s_load_dwordx2 s[10:11], s[0:1], 0x18
	v_lshrrev_b32_e32 v1, 4, v0
	v_lshl_or_b32 v6, s2, 2, v1
	v_mov_b32_e32 v4, 0
	s_waitcnt lgkmcnt(0)
	v_cmp_lt_u64_e64 s[2:3], s[6:7], 2
	v_mov_b32_e32 v7, v4
	s_and_b64 vcc, exec, s[2:3]
	v_mov_b64_e32 v[2:3], 0
	s_cbranch_vccnz .LBB0_8
; %bb.1:
	s_load_dwordx2 s[2:3], s[0:1], 0x10
	s_add_u32 s12, s10, 8
	s_addc_u32 s13, s11, 0
	s_mov_b64 s[14:15], 1
	v_mov_b64_e32 v[2:3], 0
	s_waitcnt lgkmcnt(0)
	s_add_u32 s16, s2, 8
	s_addc_u32 s17, s3, 0
.LBB0_2:                                ; =>This Inner Loop Header: Depth=1
	s_load_dwordx2 s[18:19], s[16:17], 0x0
                                        ; implicit-def: $vgpr8_vgpr9
	s_waitcnt lgkmcnt(0)
	v_or_b32_e32 v5, s19, v7
	v_cmp_ne_u64_e32 vcc, 0, v[4:5]
	s_and_saveexec_b64 s[2:3], vcc
	s_xor_b64 s[20:21], exec, s[2:3]
	s_cbranch_execz .LBB0_4
; %bb.3:                                ;   in Loop: Header=BB0_2 Depth=1
	v_cvt_f32_u32_e32 v5, s18
	v_cvt_f32_u32_e32 v8, s19
	s_sub_u32 s2, 0, s18
	s_subb_u32 s3, 0, s19
	v_fmac_f32_e32 v5, 0x4f800000, v8
	v_rcp_f32_e32 v5, v5
	s_nop 0
	v_mul_f32_e32 v5, 0x5f7ffffc, v5
	v_mul_f32_e32 v8, 0x2f800000, v5
	v_trunc_f32_e32 v8, v8
	v_fmac_f32_e32 v5, 0xcf800000, v8
	v_cvt_u32_f32_e32 v12, v8
	v_cvt_u32_f32_e32 v5, v5
	v_mul_lo_u32 v8, s2, v12
	v_mul_hi_u32 v10, s2, v5
	v_mul_lo_u32 v9, s3, v5
	v_add_u32_e32 v10, v10, v8
	v_mul_lo_u32 v13, s2, v5
	v_add_u32_e32 v14, v10, v9
	v_mul_hi_u32 v8, v5, v13
	v_mul_hi_u32 v11, v5, v14
	v_mul_lo_u32 v10, v5, v14
	v_mov_b32_e32 v9, v4
	v_lshl_add_u64 v[8:9], v[8:9], 0, v[10:11]
	v_mul_hi_u32 v11, v12, v13
	v_mul_lo_u32 v13, v12, v13
	v_add_co_u32_e32 v8, vcc, v8, v13
	v_mul_hi_u32 v10, v12, v14
	s_nop 0
	v_addc_co_u32_e32 v8, vcc, v9, v11, vcc
	v_mov_b32_e32 v9, v4
	s_nop 0
	v_addc_co_u32_e32 v11, vcc, 0, v10, vcc
	v_mul_lo_u32 v10, v12, v14
	v_lshl_add_u64 v[8:9], v[8:9], 0, v[10:11]
	v_add_co_u32_e32 v5, vcc, v5, v8
	v_mul_lo_u32 v10, s2, v5
	s_nop 0
	v_addc_co_u32_e32 v12, vcc, v12, v9, vcc
	v_mul_lo_u32 v8, s2, v12
	v_mul_hi_u32 v9, s2, v5
	v_add_u32_e32 v8, v9, v8
	v_mul_lo_u32 v9, s3, v5
	v_add_u32_e32 v13, v8, v9
	v_mul_hi_u32 v15, v12, v10
	v_mul_lo_u32 v16, v12, v10
	v_mul_hi_u32 v9, v5, v13
	v_mul_lo_u32 v8, v5, v13
	v_mul_hi_u32 v10, v5, v10
	v_mov_b32_e32 v11, v4
	v_lshl_add_u64 v[8:9], v[10:11], 0, v[8:9]
	v_add_co_u32_e32 v8, vcc, v8, v16
	v_mul_hi_u32 v14, v12, v13
	s_nop 0
	v_addc_co_u32_e32 v8, vcc, v9, v15, vcc
	v_mul_lo_u32 v10, v12, v13
	s_nop 0
	v_addc_co_u32_e32 v11, vcc, 0, v14, vcc
	v_mov_b32_e32 v9, v4
	v_lshl_add_u64 v[8:9], v[8:9], 0, v[10:11]
	v_add_co_u32_e32 v5, vcc, v5, v8
	v_mul_hi_u32 v10, v6, v5
	s_nop 0
	v_addc_co_u32_e32 v12, vcc, v12, v9, vcc
	v_mad_u64_u32 v[8:9], s[2:3], v6, v12, 0
	v_mov_b32_e32 v11, v4
	v_lshl_add_u64 v[8:9], v[10:11], 0, v[8:9]
	v_mad_u64_u32 v[10:11], s[2:3], v7, v12, 0
	v_mad_u64_u32 v[12:13], s[2:3], v7, v5, 0
	v_add_co_u32_e32 v5, vcc, v8, v12
	s_nop 1
	v_addc_co_u32_e32 v8, vcc, v9, v13, vcc
	v_mov_b32_e32 v9, v4
	s_nop 0
	v_addc_co_u32_e32 v11, vcc, 0, v11, vcc
	v_lshl_add_u64 v[8:9], v[8:9], 0, v[10:11]
	v_mul_lo_u32 v5, s19, v8
	v_mul_lo_u32 v12, s18, v9
	v_mad_u64_u32 v[10:11], s[2:3], s18, v8, 0
	v_add3_u32 v5, v11, v12, v5
	v_sub_u32_e32 v11, v7, v5
	v_mov_b32_e32 v12, s19
	v_sub_co_u32_e32 v14, vcc, v6, v10
	s_nop 1
	v_subb_co_u32_e64 v10, s[2:3], v11, v12, vcc
	v_subrev_co_u32_e64 v11, s[2:3], s18, v14
	v_subb_co_u32_e32 v5, vcc, v7, v5, vcc
	s_nop 0
	v_subbrev_co_u32_e64 v10, s[2:3], 0, v10, s[2:3]
	v_cmp_le_u32_e64 s[2:3], s19, v10
	v_cmp_le_u32_e32 vcc, s19, v5
	s_nop 0
	v_cndmask_b32_e64 v12, 0, -1, s[2:3]
	v_cmp_le_u32_e64 s[2:3], s18, v11
	s_nop 1
	v_cndmask_b32_e64 v11, 0, -1, s[2:3]
	v_cmp_eq_u32_e64 s[2:3], s19, v10
	s_nop 1
	v_cndmask_b32_e64 v15, v12, v11, s[2:3]
	v_lshl_add_u64 v[10:11], v[8:9], 0, 2
	v_lshl_add_u64 v[12:13], v[8:9], 0, 1
	v_cmp_ne_u32_e64 s[2:3], 0, v15
	s_nop 1
	v_cndmask_b32_e64 v11, v13, v11, s[2:3]
	v_cndmask_b32_e64 v13, 0, -1, vcc
	v_cmp_le_u32_e32 vcc, s18, v14
	s_nop 1
	v_cndmask_b32_e64 v14, 0, -1, vcc
	v_cmp_eq_u32_e32 vcc, s19, v5
	s_nop 1
	v_cndmask_b32_e32 v5, v13, v14, vcc
	v_cmp_ne_u32_e32 vcc, 0, v5
	v_cndmask_b32_e64 v5, v12, v10, s[2:3]
	s_nop 0
	v_cndmask_b32_e32 v9, v9, v11, vcc
	v_cndmask_b32_e32 v8, v8, v5, vcc
.LBB0_4:                                ;   in Loop: Header=BB0_2 Depth=1
	s_andn2_saveexec_b64 s[2:3], s[20:21]
	s_cbranch_execz .LBB0_6
; %bb.5:                                ;   in Loop: Header=BB0_2 Depth=1
	v_cvt_f32_u32_e32 v5, s18
	s_sub_i32 s20, 0, s18
	v_rcp_iflag_f32_e32 v5, v5
	s_nop 0
	v_mul_f32_e32 v5, 0x4f7ffffe, v5
	v_cvt_u32_f32_e32 v5, v5
	v_mul_lo_u32 v8, s20, v5
	v_mul_hi_u32 v8, v5, v8
	v_add_u32_e32 v5, v5, v8
	v_mul_hi_u32 v5, v6, v5
	v_mul_lo_u32 v8, v5, s18
	v_sub_u32_e32 v8, v6, v8
	v_add_u32_e32 v9, 1, v5
	v_subrev_u32_e32 v10, s18, v8
	v_cmp_le_u32_e32 vcc, s18, v8
	s_nop 1
	v_cndmask_b32_e32 v8, v8, v10, vcc
	v_cndmask_b32_e32 v5, v5, v9, vcc
	v_add_u32_e32 v9, 1, v5
	v_cmp_le_u32_e32 vcc, s18, v8
	s_nop 1
	v_cndmask_b32_e32 v8, v5, v9, vcc
	v_mov_b32_e32 v9, v4
.LBB0_6:                                ;   in Loop: Header=BB0_2 Depth=1
	s_or_b64 exec, exec, s[2:3]
	v_mad_u64_u32 v[10:11], s[2:3], v8, s18, 0
	s_load_dwordx2 s[2:3], s[12:13], 0x0
	v_mul_lo_u32 v5, v9, s18
	v_mul_lo_u32 v12, v8, s19
	v_add3_u32 v5, v11, v12, v5
	v_sub_co_u32_e32 v6, vcc, v6, v10
	s_add_u32 s14, s14, 1
	s_nop 0
	v_subb_co_u32_e32 v5, vcc, v7, v5, vcc
	s_addc_u32 s15, s15, 0
	s_waitcnt lgkmcnt(0)
	v_mul_lo_u32 v5, s2, v5
	v_mul_lo_u32 v7, s3, v6
	v_mad_u64_u32 v[2:3], s[2:3], s2, v6, v[2:3]
	s_add_u32 s12, s12, 8
	v_add3_u32 v3, v7, v3, v5
	s_addc_u32 s13, s13, 0
	v_mov_b64_e32 v[6:7], s[6:7]
	s_add_u32 s16, s16, 8
	v_cmp_ge_u64_e32 vcc, s[14:15], v[6:7]
	s_addc_u32 s17, s17, 0
	s_cbranch_vccnz .LBB0_9
; %bb.7:                                ;   in Loop: Header=BB0_2 Depth=1
	v_mov_b64_e32 v[6:7], v[8:9]
	s_branch .LBB0_2
.LBB0_8:
	v_mov_b64_e32 v[8:9], v[6:7]
.LBB0_9:
	s_lshl_b64 s[2:3], s[6:7], 3
	s_add_u32 s2, s10, s2
	s_addc_u32 s3, s11, s3
	s_load_dwordx2 s[6:7], s[2:3], 0x0
	s_load_dwordx2 s[10:11], s[0:1], 0x20
	v_mul_u32_u24_e32 v1, 0xb1, v1
	v_and_b32_e32 v14, 15, v0
	v_lshlrev_b32_e32 v16, 3, v14
	s_waitcnt lgkmcnt(0)
	v_mul_lo_u32 v4, s6, v9
	v_mul_lo_u32 v5, s7, v8
	v_mad_u64_u32 v[2:3], s[0:1], s6, v8, v[2:3]
	v_add3_u32 v3, v5, v3, v4
	v_cmp_gt_u64_e32 vcc, s[10:11], v[8:9]
	v_lshl_add_u64 v[12:13], v[2:3], 3, s[8:9]
	v_lshlrev_b32_e32 v4, 3, v1
	s_and_saveexec_b64 s[0:1], vcc
	s_cbranch_execz .LBB0_11
; %bb.10:
	v_mov_b32_e32 v17, 0
	v_lshl_add_u64 v[0:1], v[12:13], 0, v[16:17]
	global_load_dwordx2 v[2:3], v[0:1], off
	global_load_dwordx2 v[6:7], v[0:1], off offset:128
	global_load_dwordx2 v[8:9], v[0:1], off offset:256
	;; [unrolled: 1-line block ×10, first 2 shown]
	v_add3_u32 v0, 0, v4, v16
	s_waitcnt vmcnt(9)
	ds_write2_b64 v0, v[2:3], v[6:7] offset1:16
	s_waitcnt vmcnt(7)
	ds_write2_b64 v0, v[8:9], v[10:11] offset0:32 offset1:48
	s_waitcnt vmcnt(5)
	ds_write2_b64 v0, v[18:19], v[20:21] offset0:64 offset1:80
	;; [unrolled: 2-line block ×4, first 2 shown]
	s_waitcnt vmcnt(0)
	ds_write_b64 v0, v[30:31] offset:1280
.LBB0_11:
	s_or_b64 exec, exec, s[0:1]
	v_add3_u32 v62, 0, v16, v4
	s_waitcnt lgkmcnt(0)
	; wave barrier
	s_waitcnt lgkmcnt(0)
	ds_read2_b64 v[0:3], v62 offset0:144 offset1:160
	ds_read2_b64 v[28:31], v62 offset0:16 offset1:32
	s_mov_b32 s0, 0xbf27a4f4
	s_mov_b32 s1, 0xbf4178ce
	v_add_u32_e32 v15, 0, v4
	s_mov_b32 s6, 0xbf75a155
	s_waitcnt lgkmcnt(0)
	v_pk_add_f32 v[24:25], v[28:29], v[2:3] neg_lo:[0,1] neg_hi:[0,1]
	v_pk_add_f32 v[22:23], v[28:29], v[2:3]
	v_pk_mul_f32 v[4:5], v[24:25], s[0:1]
	v_mov_b32_e32 v23, v25
	v_mov_b32_e32 v4, v5
	s_mov_b32 s7, 0xbe903f40
	v_add_u32_e32 v17, v15, v16
	v_pk_fma_f32 v[20:21], v[22:23], s[0:1], v[4:5]
	v_pk_fma_f32 v[8:9], v[22:23], s[0:1], v[4:5] neg_lo:[0,0,1] neg_hi:[0,0,1]
	v_pk_mul_f32 v[4:5], v[24:25], s[6:7]
	ds_read2_b64 v[32:35], v62 offset0:48 offset1:64
	ds_read2_b64 v[48:51], v62 offset0:112 offset1:128
	v_mov_b32_e32 v24, v5
	ds_read_b64 v[10:11], v17
	ds_read2_b64 v[4:7], v62 offset0:80 offset1:96
	v_mov_b32_e32 v18, v1
	v_mov_b32_e32 v19, v3
	;; [unrolled: 1-line block ×6, first 2 shown]
	v_pk_add_f32 v[42:43], v[18:19], v[42:43]
	v_mov_b32_e32 v18, v30
	v_mov_b32_e32 v19, v28
	v_pk_add_f32 v[46:47], v[18:19], v[38:39] neg_lo:[0,1] neg_hi:[0,1]
	s_waitcnt lgkmcnt(1)
	v_pk_add_f32 v[18:19], v[10:11], v[28:29]
	v_pk_add_f32 v[36:37], v[32:33], v[50:51] neg_lo:[0,1] neg_hi:[0,1]
	v_pk_add_f32 v[18:19], v[18:19], v[30:31]
	v_pk_add_f32 v[40:41], v[32:33], v[50:51]
	;; [unrolled: 1-line block ×3, first 2 shown]
	s_mov_b32 s2, 0xbf0a6770
	v_pk_add_f32 v[18:19], v[18:19], v[34:35]
	v_mov_b32_e32 v45, v0
	s_waitcnt lgkmcnt(0)
	v_pk_add_f32 v[18:19], v[18:19], v[4:5]
	v_mov_b32_e32 v39, v30
	v_pk_add_f32 v[18:19], v[18:19], v[6:7]
	v_mov_b32_e32 v55, v31
	;; [unrolled: 2-line block ×4, first 2 shown]
	v_mov_b32_e32 v31, v43
	s_mov_b32 s16, s7
	s_mov_b32 s17, s6
	v_pk_add_f32 v[0:1], v[18:19], v[0:1]
	v_mov_b32_e32 v37, v41
	s_mov_b32 s3, 0x3f575c64
	v_mov_b32_e32 v65, v48
	v_mov_b32_e32 v67, v34
	;; [unrolled: 1-line block ×4, first 2 shown]
	s_mov_b32 s12, 0x3f7d64f0
	s_mov_b32 s13, s1
	v_pk_add_f32 v[18:19], v[0:1], v[2:3]
	v_pk_mul_f32 v[0:1], v[30:31], s[16:17]
	s_mov_b32 s10, 0xbe11bafb
	s_mov_b32 s11, s0
	v_pk_mul_f32 v[26:27], v[36:37], s[2:3]
	v_mov_b32_e32 v38, v32
	v_mov_b32_e32 v54, v33
	v_pk_add_f32 v[60:61], v[34:35], v[48:49] neg_lo:[0,1] neg_hi:[0,1]
	v_pk_add_f32 v[52:53], v[48:49], v[34:35]
	v_pk_mul_f32 v[32:33], v[46:47], s[12:13]
	v_mov_b32_e32 v1, v0
	v_pk_mul_f32 v[48:49], v[42:43], s[10:11]
	v_mov_b32_e32 v44, v50
	v_pk_fma_f32 v[2:3], v[30:31], s[16:17], v[0:1] neg_lo:[0,0,1] neg_hi:[0,0,1]
	v_pk_fma_f32 v[30:31], v[30:31], s[16:17], v[0:1]
	v_mov_b32_e32 v0, v27
	v_mov_b32_e32 v27, v32
	;; [unrolled: 1-line block ×4, first 2 shown]
	v_pk_add_f32 v[68:69], v[44:45], v[38:39]
	v_pk_add_f32 v[38:39], v[0:1], v[26:27] neg_lo:[0,1] neg_hi:[0,1]
	v_mov_b32_e32 v1, v26
	v_pk_fma_f32 v[26:27], v[36:37], s[2:3], v[0:1]
	v_pk_add_f32 v[0:1], v[54:55], v[28:29] neg_lo:[0,1] neg_hi:[0,1]
	v_mov_b32_e32 v71, v42
	v_mov_b32_e32 v70, v1
	s_mov_b32 s28, 0x3e903f40
	s_mov_b32 s29, s6
	;; [unrolled: 1-line block ×3, first 2 shown]
	v_pk_fma_f32 v[34:35], v[22:23], s[6:7], v[24:25]
	v_pk_fma_f32 v[32:33], v[22:23], s[6:7], v[24:25] neg_lo:[0,0,1] neg_hi:[0,0,1]
	v_mov_b32_e32 v23, v47
	v_pk_mul_f32 v[72:73], v[70:71], s[28:29]
	v_mov_b32_e32 v75, v46
	v_mov_b32_e32 v74, v69
	s_mov_b32 s26, s6
	s_mov_b32 s27, s28
	;; [unrolled: 1-line block ×3, first 2 shown]
	v_mov_b32_e32 v64, v6
	v_mov_b32_e32 v66, v4
	v_pk_fma_f32 v[4:5], v[74:75], s[26:27], v[72:73]
	v_pk_fma_f32 v[6:7], v[74:75], s[26:27], v[72:73] neg_lo:[0,0,1] neg_hi:[0,0,1]
	v_mov_b32_e32 v54, v25
	v_mov_b32_e32 v55, v43
	s_mov_b32 s9, s10
	v_pk_mul_f32 v[58:59], v[22:23], s[10:11]
	v_mov_b32_e32 v7, v5
	v_pk_fma_f32 v[56:57], v[54:55], s[8:9], v[58:59]
	v_pk_fma_f32 v[4:5], v[54:55], s[8:9], v[58:59] neg_lo:[1,0,0] neg_hi:[1,0,0]
	s_mov_b32 s14, s2
	v_mov_b32_e32 v5, v57
	v_pk_add_f32 v[4:5], v[10:11], v[4:5]
	s_mov_b32 s15, s12
	v_pk_add_f32 v[24:25], v[6:7], v[4:5]
	s_mov_b32 s19, 0x3f0a6770
	s_mov_b32 s18, s1
	v_pk_mul_f32 v[4:5], v[0:1], s[14:15]
	s_mov_b32 s14, s3
	s_mov_b32 s15, s10
	;; [unrolled: 1-line block ×3, first 2 shown]
	v_mov_b32_e32 v43, v42
	v_mov_b32_e32 v42, v41
	v_pk_mul_f32 v[6:7], v[0:1], s[18:19]
	v_pk_fma_f32 v[50:51], v[68:69], s[14:15], v[4:5]
	v_pk_fma_f32 v[4:5], v[68:69], s[14:15], v[4:5] neg_lo:[0,0,1] neg_hi:[0,0,1]
	s_mov_b32 s14, s0
	s_mov_b32 s15, s3
	;; [unrolled: 1-line block ×3, first 2 shown]
	v_pk_fma_f32 v[44:45], v[46:47], s[12:13], v[48:49] neg_lo:[1,0,0] neg_hi:[1,0,0]
	v_pk_fma_f32 v[28:29], v[46:47], s[12:13], v[48:49]
	v_mov_b32_e32 v37, v46
	v_mov_b32_e32 v1, v41
	v_pk_fma_f32 v[46:47], v[68:69], s[14:15], v[6:7]
	v_pk_fma_f32 v[6:7], v[68:69], s[14:15], v[6:7] neg_lo:[0,0,1] neg_hi:[0,0,1]
	v_pk_mul_f32 v[40:41], v[42:43], s[14:15]
	v_mov_b32_e32 v69, v36
	s_mov_b32 s14, s25
	s_mov_b32 s15, s24
	v_pk_fma_f32 v[48:49], v[36:37], s[18:19], v[40:41] neg_lo:[1,0,0] neg_hi:[1,0,0]
	v_pk_fma_f32 v[40:41], v[36:37], s[18:19], v[40:41]
	v_pk_mul_f32 v[36:37], v[74:75], s[26:27]
	v_pk_mul_f32 v[42:43], v[68:69], s[14:15]
	;; [unrolled: 1-line block ×3, first 2 shown]
	v_mov_b32_e32 v77, v36
	v_mov_b32_e32 v81, v72
	;; [unrolled: 1-line block ×5, first 2 shown]
	v_pk_add_f32 v[36:37], v[72:73], v[36:37] neg_lo:[0,1] neg_hi:[0,1]
	v_pk_fma_f32 v[42:43], v[68:69], s[14:15], v[78:79]
	v_pk_fma_f32 v[72:73], v[68:69], s[14:15], v[78:79] neg_lo:[0,0,1] neg_hi:[0,0,1]
	s_mov_b32 s14, 0xbf68dda4
	s_mov_b32 s15, s25
	v_mov_b32_e32 v73, v43
	s_mov_b32 s30, s25
	s_mov_b32 s31, s14
	v_pk_mul_f32 v[42:43], v[70:71], s[14:15]
	v_mov_b32_e32 v80, v78
	v_pk_add_f32 v[24:25], v[72:73], v[24:25]
	v_pk_fma_f32 v[72:73], v[74:75], s[30:31], v[42:43]
	v_pk_fma_f32 v[78:79], v[74:75], s[30:31], v[42:43] neg_lo:[0,0,1] neg_hi:[0,0,1]
	v_pk_add_f32 v[76:77], v[76:77], v[80:81]
	v_mov_b32_e32 v79, v73
	v_pk_mul_f32 v[72:73], v[74:75], s[30:31]
	v_pk_mul_f32 v[80:81], v[68:69], s[10:11]
	;; [unrolled: 1-line block ×3, first 2 shown]
	v_mov_b32_e32 v83, v72
	v_mov_b32_e32 v87, v42
	;; [unrolled: 1-line block ×5, first 2 shown]
	v_pk_add_f32 v[42:43], v[42:43], v[72:73] neg_lo:[0,1] neg_hi:[0,1]
	v_pk_fma_f32 v[72:73], v[68:69], s[10:11], v[84:85]
	v_pk_fma_f32 v[80:81], v[68:69], s[10:11], v[84:85] neg_lo:[0,0,1] neg_hi:[0,0,1]
	s_mov_b32 s20, s3
	s_mov_b32 s21, s2
	v_mov_b32_e32 v86, v84
	v_mov_b32_e32 v81, v73
	v_pk_mul_f32 v[72:73], v[22:23], s[20:21]
	v_pk_add_f32 v[82:83], v[82:83], v[86:87]
	v_pk_fma_f32 v[84:85], v[54:55], s[2:3], v[72:73]
	v_pk_fma_f32 v[86:87], v[54:55], s[2:3], v[72:73] neg_lo:[1,0,0] neg_hi:[1,0,0]
	s_mov_b32 s22, s1
	v_mov_b32_e32 v87, v85
	v_pk_add_f32 v[86:87], v[10:11], v[86:87]
	s_mov_b32 s23, s0
	v_pk_add_f32 v[78:79], v[78:79], v[86:87]
	v_pk_mul_f32 v[70:71], v[70:71], s[22:23]
	v_pk_add_f32 v[78:79], v[80:81], v[78:79]
	v_pk_fma_f32 v[80:81], v[74:75], s[0:1], v[70:71]
	v_pk_fma_f32 v[86:87], v[74:75], s[0:1], v[70:71] neg_lo:[0,0,1] neg_hi:[0,0,1]
	v_pk_mul_f32 v[74:75], v[74:75], s[0:1]
	v_mov_b32_e32 v87, v81
	v_pk_mul_f32 v[0:1], v[0:1], s[28:29]
	v_pk_mul_f32 v[80:81], v[68:69], s[26:27]
	v_mov_b32_e32 v89, v74
	v_mov_b32_e32 v91, v70
	;; [unrolled: 1-line block ×5, first 2 shown]
	v_pk_add_f32 v[70:71], v[70:71], v[74:75] neg_lo:[0,1] neg_hi:[0,1]
	v_pk_fma_f32 v[74:75], v[68:69], s[26:27], v[0:1]
	v_pk_fma_f32 v[0:1], v[68:69], s[26:27], v[0:1] neg_lo:[0,0,1] neg_hi:[0,0,1]
	v_pk_mul_f32 v[68:69], v[22:23], s[30:31]
	v_mov_b32_e32 v1, v75
	v_pk_fma_f32 v[74:75], v[54:55], s[14:15], v[68:69]
	v_pk_fma_f32 v[22:23], v[54:55], s[14:15], v[68:69] neg_lo:[1,0,0] neg_hi:[1,0,0]
	v_mov_b32_e32 v88, v80
	v_mov_b32_e32 v23, v75
	v_pk_add_f32 v[22:23], v[10:11], v[22:23]
	v_pk_add_f32 v[88:89], v[88:89], v[90:91]
	;; [unrolled: 1-line block ×3, first 2 shown]
	s_mov_b32 s28, s24
	v_pk_add_f32 v[0:1], v[0:1], v[22:23]
	v_pk_add_f32 v[22:23], v[64:65], v[66:67]
	v_pk_add_f32 v[64:65], v[66:67], v[64:65] neg_lo:[0,1] neg_hi:[0,1]
	v_mov_b32_e32 v66, v61
	v_mov_b32_e32 v67, v53
	;; [unrolled: 1-line block ×4, first 2 shown]
	v_pk_mul_f32 v[86:87], v[66:67], s[2:3]
	s_mov_b32 s29, s7
	v_pk_fma_f32 v[90:91], v[80:81], s[20:21], v[86:87]
	v_pk_fma_f32 v[92:93], v[80:81], s[20:21], v[86:87] neg_lo:[0,0,1] neg_hi:[0,0,1]
	s_mov_b32 s30, s8
	v_mov_b32_e32 v93, v91
	v_pk_mul_f32 v[90:91], v[66:67], s[22:23]
	v_pk_add_f32 v[24:25], v[92:93], v[24:25]
	v_pk_fma_f32 v[92:93], v[80:81], s[0:1], v[90:91]
	v_pk_fma_f32 v[94:95], v[80:81], s[0:1], v[90:91] neg_lo:[0,0,1] neg_hi:[0,0,1]
	s_mov_b32 s31, s24
	v_mov_b32_e32 v95, v93
	s_mov_b32 s26, s25
	s_mov_b32 s27, s6
	v_pk_mul_f32 v[92:93], v[60:61], s[28:29]
	s_mov_b32 s11, s25
	v_pk_mul_f32 v[98:99], v[60:61], s[30:31]
	v_pk_fma_f32 v[96:97], v[22:23], s[26:27], v[92:93] neg_lo:[0,0,1] neg_hi:[0,0,1]
	v_pk_fma_f32 v[92:93], v[22:23], s[26:27], v[92:93]
	v_pk_fma_f32 v[100:101], v[22:23], s[10:11], v[98:99] neg_lo:[0,0,1] neg_hi:[0,0,1]
	v_pk_fma_f32 v[98:99], v[22:23], s[10:11], v[98:99]
	v_mov_b32_e32 v61, v52
	v_mov_b32_e32 v23, v64
	v_pk_mul_f32 v[102:103], v[80:81], s[0:1]
	v_pk_mul_f32 v[104:105], v[22:23], s[6:7]
	;; [unrolled: 1-line block ×3, first 2 shown]
	v_mov_b32_e32 v107, v102
	v_mov_b32_e32 v111, v90
	;; [unrolled: 1-line block ×4, first 2 shown]
	s_mov_b32 s13, s10
	v_mov_b32_e32 v106, v104
	v_pk_add_f32 v[90:91], v[90:91], v[102:103] neg_lo:[0,1] neg_hi:[0,1]
	v_pk_fma_f32 v[102:103], v[22:23], s[6:7], v[108:109]
	v_pk_fma_f32 v[104:105], v[22:23], s[6:7], v[108:109] neg_lo:[0,0,1] neg_hi:[0,0,1]
	v_pk_mul_f32 v[66:67], v[66:67], s[12:13]
	s_mov_b32 s6, s10
	s_mov_b32 s7, s12
	v_mov_b32_e32 v105, v103
	v_pk_add_f32 v[78:79], v[94:95], v[78:79]
	v_pk_fma_f32 v[94:95], v[80:81], s[6:7], v[66:67]
	v_pk_fma_f32 v[102:103], v[80:81], s[6:7], v[66:67] neg_lo:[0,0,1] neg_hi:[0,0,1]
	s_mov_b32 s12, s19
	s_mov_b32 s13, s3
	s_mov_b32 s18, s3
	v_mov_b32_e32 v110, v108
	v_mov_b32_e32 v103, v95
	v_pk_mul_f32 v[94:95], v[80:81], s[6:7]
	v_pk_mul_f32 v[108:109], v[22:23], s[18:19]
	v_pk_mul_f32 v[112:113], v[60:61], s[12:13]
	v_pk_add_f32 v[106:107], v[106:107], v[110:111]
	v_mov_b32_e32 v111, v94
	v_mov_b32_e32 v115, v66
	;; [unrolled: 1-line block ×5, first 2 shown]
	v_pk_add_f32 v[66:67], v[66:67], v[94:95] neg_lo:[0,1] neg_hi:[0,1]
	v_pk_fma_f32 v[94:95], v[22:23], s[18:19], v[112:113]
	v_pk_fma_f32 v[108:109], v[22:23], s[18:19], v[112:113] neg_lo:[0,0,1] neg_hi:[0,0,1]
	v_pk_add_f32 v[0:1], v[102:103], v[0:1]
	v_mov_b32_e32 v109, v95
	v_pk_mul_f32 v[80:81], v[80:81], s[20:21]
	v_pk_mul_f32 v[60:61], v[60:61], s[22:23]
	;; [unrolled: 1-line block ×3, first 2 shown]
	v_pk_add_f32 v[0:1], v[108:109], v[0:1]
	v_mov_b32_e32 v103, v80
	v_mov_b32_e32 v109, v86
	;; [unrolled: 1-line block ×4, first 2 shown]
	v_pk_add_f32 v[80:81], v[86:87], v[80:81] neg_lo:[0,1] neg_hi:[0,1]
	v_pk_fma_f32 v[86:87], v[22:23], s[0:1], v[60:61]
	v_pk_fma_f32 v[22:23], v[22:23], s[0:1], v[60:61] neg_lo:[0,0,1] neg_hi:[0,0,1]
	v_mov_b32_e32 v108, v60
	v_mov_b32_e32 v23, v87
	v_pk_add_f32 v[24:25], v[22:23], v[24:25]
	v_pk_mul_f32 v[22:23], v[64:65], s[30:31]
	v_pk_mul_f32 v[60:61], v[64:65], s[28:29]
	v_pk_fma_f32 v[86:87], v[52:53], s[10:11], v[22:23]
	v_pk_fma_f32 v[64:65], v[52:53], s[26:27], v[60:61]
	v_pk_fma_f32 v[60:61], v[52:53], s[26:27], v[60:61] neg_lo:[0,0,1] neg_hi:[0,0,1]
	v_pk_fma_f32 v[52:53], v[52:53], s[10:11], v[22:23] neg_lo:[0,0,1] neg_hi:[0,0,1]
	;; [unrolled: 1-line block ×3, first 2 shown]
	v_mov_b32_e32 v72, v83
	v_mov_b32_e32 v85, v23
	v_pk_add_f32 v[22:23], v[10:11], v[84:85]
	v_mov_b32_e32 v73, v43
	v_mov_b32_e32 v21, v45
	;; [unrolled: 1-line block ×3, first 2 shown]
	v_pk_add_f32 v[22:23], v[72:73], v[22:23]
	v_mov_b32_e32 v83, v42
	v_pk_add_f32 v[20:21], v[10:11], v[20:21]
	v_mov_b32_e32 v44, v51
	v_mov_b32_e32 v45, v39
	v_pk_add_f32 v[30:31], v[10:11], v[32:33]
	v_mov_b32_e32 v32, v7
	;; [unrolled: 3-line block ×4, first 2 shown]
	v_pk_add_f32 v[30:31], v[32:33], v[30:31]
	v_mov_b32_e32 v7, v40
	v_pk_add_f32 v[22:23], v[42:43], v[22:23]
	v_pk_fma_f32 v[42:43], v[54:55], s[14:15], v[68:69] neg_lo:[0,0,1] neg_hi:[0,0,1]
	v_pk_fma_f32 v[54:55], v[54:55], s[8:9], v[58:59] neg_lo:[0,0,1] neg_hi:[0,0,1]
	v_pk_add_f32 v[20:21], v[50:51], v[20:21]
	v_mov_b32_e32 v38, v93
	v_mov_b32_e32 v39, v61
	v_pk_add_f32 v[6:7], v[6:7], v[30:31]
	v_mov_b32_e32 v30, v101
	v_mov_b32_e32 v31, v87
	;; [unrolled: 1-line block ×4, first 2 shown]
	v_pk_add_f32 v[20:21], v[38:39], v[20:21]
	v_mov_b32_e32 v93, v60
	v_mov_b32_e32 v35, v3
	v_pk_add_f32 v[6:7], v[30:31], v[6:7]
	v_mov_b32_e32 v101, v86
	v_mov_b32_e32 v9, v29
	;; [unrolled: 1-line block ×4, first 2 shown]
	v_pk_add_f32 v[42:43], v[10:11], v[74:75]
	v_mov_b32_e32 v68, v89
	v_mov_b32_e32 v69, v71
	v_pk_add_f32 v[54:55], v[10:11], v[56:57]
	v_mov_b32_e32 v56, v77
	v_mov_b32_e32 v57, v37
	v_pk_add_f32 v[38:39], v[92:93], v[20:21]
	v_pk_add_f32 v[2:3], v[10:11], v[34:35]
	v_mov_b32_e32 v20, v47
	v_mov_b32_e32 v21, v49
	v_pk_add_f32 v[30:31], v[100:101], v[6:7]
	;; [unrolled: 4-line block ×3, first 2 shown]
	v_pk_add_f32 v[102:103], v[102:103], v[108:109]
	v_pk_add_f32 v[42:43], v[68:69], v[42:43]
	v_mov_b32_e32 v89, v70
	v_pk_add_f32 v[54:55], v[56:57], v[54:55]
	v_mov_b32_e32 v77, v36
	;; [unrolled: 2-line block ×5, first 2 shown]
	v_mov_b32_e32 v69, v67
	v_pk_add_f32 v[36:37], v[76:77], v[54:55]
	v_mov_b32_e32 v54, v103
	v_mov_b32_e32 v55, v81
	v_pk_add_f32 v[20:21], v[46:47], v[20:21]
	v_mov_b32_e32 v34, v99
	v_mov_b32_e32 v35, v53
	v_pk_add_f32 v[4:5], v[4:5], v[6:7]
	v_mov_b32_e32 v6, v97
	v_mov_b32_e32 v7, v65
	v_mov_b32_e32 v107, v90
	v_pk_add_f32 v[42:43], v[68:69], v[42:43]
	v_mov_b32_e32 v111, v66
	v_pk_add_f32 v[36:37], v[54:55], v[36:37]
	v_mov_b32_e32 v103, v80
	s_movk_i32 s0, 0x50
	v_pk_add_f32 v[20:21], v[34:35], v[20:21]
	v_mov_b32_e32 v99, v52
	v_pk_add_f32 v[4:5], v[6:7], v[4:5]
	v_mov_b32_e32 v97, v64
	v_pk_add_f32 v[22:23], v[106:107], v[22:23]
	v_pk_add_f32 v[42:43], v[110:111], v[42:43]
	;; [unrolled: 1-line block ×4, first 2 shown]
	v_mad_u32_u24 v44, v14, s0, v62
	v_pk_add_f32 v[20:21], v[98:99], v[20:21]
	v_pk_add_f32 v[26:27], v[96:97], v[4:5]
	v_cmp_gt_u32_e64 s[0:1], 11, v14
	s_waitcnt lgkmcnt(0)
	; wave barrier
	ds_write2_b64 v44, v[18:19], v[22:23] offset1:1
	ds_write2_b64 v44, v[42:43], v[36:37] offset0:2 offset1:3
	ds_write2_b64 v44, v[38:39], v[20:21] offset0:4 offset1:5
	;; [unrolled: 1-line block ×4, first 2 shown]
	ds_write_b64 v44, v[2:3] offset:80
	s_waitcnt lgkmcnt(0)
	; wave barrier
	s_waitcnt lgkmcnt(0)
                                        ; implicit-def: $vgpr8
                                        ; implicit-def: $vgpr4
                                        ; implicit-def: $vgpr28
	s_and_saveexec_b64 s[2:3], s[0:1]
	s_cbranch_execz .LBB0_13
; %bb.12:
	ds_read2_b64 v[22:25], v62 offset0:11 offset1:22
	ds_read2_b64 v[32:35], v62 offset0:33 offset1:44
	;; [unrolled: 1-line block ×7, first 2 shown]
	ds_read_b64 v[18:19], v17
	ds_read_b64 v[28:29], v62 offset:1320
	s_waitcnt lgkmcnt(5)
	v_mov_b32_e32 v27, v43
	v_mov_b32_e32 v26, v42
	;; [unrolled: 1-line block ×12, first 2 shown]
	v_mov_b64_e32 v[24:25], v[44:45]
.LBB0_13:
	s_or_b64 exec, exec, s[2:3]
	s_waitcnt lgkmcnt(0)
	; wave barrier
	s_waitcnt lgkmcnt(0)
	s_and_saveexec_b64 s[2:3], s[0:1]
	s_cbranch_execz .LBB0_15
; %bb.14:
	v_add_u32_e32 v32, -11, v14
	v_cndmask_b32_e64 v32, v32, v14, s[0:1]
	v_mul_i32_i24_e32 v32, 15, v32
	v_mov_b32_e32 v33, 0
	v_lshl_add_u64 v[40:41], v[32:33], 3, s[4:5]
	global_load_dwordx4 v[32:35], v[40:41], off
	global_load_dwordx4 v[44:47], v[40:41], off offset:64
	global_load_dwordx4 v[48:51], v[40:41], off offset:32
	;; [unrolled: 1-line block ×6, first 2 shown]
	global_load_dwordx2 v[60:61], v[40:41], off offset:112
	v_mov_b32_e32 v40, v43
	v_mov_b32_e32 v72, v31
	;; [unrolled: 1-line block ×12, first 2 shown]
	s_mov_b32 s0, 0x3f3504f3
	s_mov_b32 s6, 0x3ec3ef15
	;; [unrolled: 1-line block ×3, first 2 shown]
	s_waitcnt vmcnt(7)
	v_pk_mul_f32 v[40:41], v[40:41], v[34:35] op_sel_hi:[0,1]
	v_pk_mul_f32 v[88:89], v[88:89], v[32:33] op_sel_hi:[0,1]
	s_waitcnt vmcnt(5)
	v_pk_mul_f32 v[72:73], v[72:73], v[50:51] op_sel_hi:[0,1]
	s_waitcnt vmcnt(4)
	;; [unrolled: 2-line block ×3, first 2 shown]
	v_pk_mul_f32 v[96:97], v[24:25], v[58:59] op_sel:[1,0]
	s_waitcnt vmcnt(2)
	v_pk_mul_f32 v[76:77], v[76:77], v[66:67] op_sel_hi:[0,1]
	v_pk_mul_f32 v[80:81], v[80:81], v[64:65] op_sel_hi:[0,1]
	s_waitcnt vmcnt(1)
	v_pk_mul_f32 v[82:83], v[82:83], v[68:69] op_sel_hi:[0,1]
	v_pk_mul_f32 v[84:85], v[84:85], v[56:57] op_sel_hi:[0,1]
	;; [unrolled: 3-line block ×3, first 2 shown]
	v_pk_mul_f32 v[92:93], v[92:93], v[52:53] op_sel_hi:[0,1]
	v_pk_mul_f32 v[94:95], v[2:3], v[46:47] op_sel:[1,0]
	v_pk_mul_f32 v[78:79], v[78:79], v[70:71] op_sel_hi:[0,1]
	v_pk_mul_f32 v[98:99], v[0:1], v[44:45] op_sel:[1,0]
	v_pk_fma_f32 v[100:101], v[30:31], v[50:51], v[72:73] op_sel:[0,0,1] op_sel_hi:[1,1,0]
	v_pk_fma_f32 v[30:31], v[30:31], v[50:51], v[72:73] op_sel:[0,0,1] op_sel_hi:[0,1,0] neg_lo:[1,0,0] neg_hi:[1,0,0]
	v_pk_fma_f32 v[50:51], v[6:7], v[54:55], v[74:75] op_sel:[0,0,1] op_sel_hi:[1,1,0]
	v_pk_fma_f32 v[6:7], v[6:7], v[54:55], v[74:75] op_sel:[0,0,1] op_sel_hi:[0,1,0] neg_lo:[1,0,0] neg_hi:[1,0,0]
	;; [unrolled: 2-line block ×14, first 2 shown]
	v_mov_b32_e32 v53, v23
	v_pk_fma_f32 v[22:23], v[0:1], v[44:45], v[98:99] op_sel:[0,0,1] op_sel_hi:[1,1,0]
	v_pk_fma_f32 v[0:1], v[0:1], v[44:45], v[98:99] op_sel:[0,0,1] op_sel_hi:[0,1,0] neg_lo:[1,0,0] neg_hi:[1,0,0]
	v_mov_b32_e32 v101, v31
	v_mov_b32_e32 v51, v7
	;; [unrolled: 1-line block ×14, first 2 shown]
	v_pk_add_f32 v[2:3], v[100:101], v[50:51] neg_lo:[0,1] neg_hi:[0,1]
	v_pk_add_f32 v[4:5], v[54:55], v[40:41] neg_lo:[0,1] neg_hi:[0,1]
	;; [unrolled: 1-line block ×8, first 2 shown]
	v_pk_fma_f32 v[22:23], v[54:55], 2.0, v[4:5] op_sel_hi:[1,0,1] neg_lo:[0,0,1] neg_hi:[0,0,1]
	v_pk_fma_f32 v[26:27], v[100:101], 2.0, v[2:3] op_sel_hi:[1,0,1] neg_lo:[0,0,1] neg_hi:[0,0,1]
	;; [unrolled: 1-line block ×8, first 2 shown]
	v_pk_add_f32 v[26:27], v[22:23], v[26:27] neg_lo:[0,1] neg_hi:[0,1]
	v_pk_add_f32 v[28:29], v[18:19], v[28:29] neg_lo:[0,1] neg_hi:[0,1]
	;; [unrolled: 1-line block ×4, first 2 shown]
	v_pk_fma_f32 v[18:19], v[18:19], 2.0, v[28:29] op_sel_hi:[1,0,1] neg_lo:[0,0,1] neg_hi:[0,0,1]
	v_pk_fma_f32 v[22:23], v[22:23], 2.0, v[26:27] op_sel_hi:[1,0,1] neg_lo:[0,0,1] neg_hi:[0,0,1]
	;; [unrolled: 1-line block ×4, first 2 shown]
	v_pk_add_f32 v[22:23], v[18:19], v[22:23] neg_lo:[0,1] neg_hi:[0,1]
	v_pk_add_f32 v[30:31], v[34:35], v[30:31] neg_lo:[0,1] neg_hi:[0,1]
	v_pk_fma_f32 v[18:19], v[18:19], 2.0, v[22:23] op_sel_hi:[1,0,1] neg_lo:[0,0,1] neg_hi:[0,0,1]
	v_pk_fma_f32 v[34:35], v[34:35], 2.0, v[30:31] op_sel_hi:[1,0,1] neg_lo:[0,0,1] neg_hi:[0,0,1]
	s_nop 0
	v_pk_add_f32 v[34:35], v[18:19], v[34:35] neg_lo:[0,1] neg_hi:[0,1]
	s_nop 0
	v_pk_fma_f32 v[18:19], v[18:19], 2.0, v[34:35] op_sel_hi:[1,0,1] neg_lo:[0,0,1] neg_hi:[0,0,1]
	ds_write_b64 v17, v[18:19]
	v_pk_add_f32 v[18:19], v[4:5], v[2:3] op_sel:[0,1] op_sel_hi:[1,0]
	v_pk_add_f32 v[2:3], v[4:5], v[2:3] op_sel:[0,1] op_sel_hi:[1,0] neg_lo:[0,1] neg_hi:[0,1]
	s_nop 0
	v_mov_b32_e32 v19, v3
	v_pk_add_f32 v[2:3], v[8:9], v[6:7] op_sel:[0,1] op_sel_hi:[1,0]
	v_pk_add_f32 v[6:7], v[8:9], v[6:7] op_sel:[0,1] op_sel_hi:[1,0] neg_lo:[0,1] neg_hi:[0,1]
	v_pk_fma_f32 v[4:5], v[4:5], 2.0, v[18:19] op_sel_hi:[1,0,1] neg_lo:[0,0,1] neg_hi:[0,0,1]
	v_mov_b32_e32 v3, v7
	v_pk_add_f32 v[6:7], v[20:21], v[10:11] op_sel:[0,1] op_sel_hi:[1,0]
	v_pk_add_f32 v[10:11], v[20:21], v[10:11] op_sel:[0,1] op_sel_hi:[1,0] neg_lo:[0,1] neg_hi:[0,1]
	v_pk_fma_f32 v[8:9], v[8:9], 2.0, v[2:3] op_sel_hi:[1,0,1] neg_lo:[0,0,1] neg_hi:[0,0,1]
	;; [unrolled: 4-line block ×3, first 2 shown]
	v_mov_b32_e32 v11, v25
	v_pk_mul_f32 v[24:25], v[4:5], s[0:1] op_sel_hi:[1,0]
	v_pk_fma_f32 v[4:5], v[4:5], s[0:1], v[8:9] op_sel_hi:[1,0,1] neg_lo:[1,0,0] neg_hi:[1,0,0]
	v_pk_fma_f32 v[0:1], v[0:1], 2.0, v[10:11] op_sel_hi:[1,0,1] neg_lo:[0,0,1] neg_hi:[0,0,1]
	v_pk_add_f32 v[38:39], v[4:5], v[24:25] op_sel:[0,1] op_sel_hi:[1,0]
	v_pk_add_f32 v[4:5], v[4:5], v[24:25] op_sel:[0,1] op_sel_hi:[1,0] neg_lo:[0,1] neg_hi:[0,1]
	v_pk_mul_f32 v[24:25], v[20:21], s[0:1] op_sel_hi:[1,0]
	v_pk_fma_f32 v[20:21], v[20:21], s[0:1], v[0:1] op_sel_hi:[1,0,1] neg_lo:[1,0,0] neg_hi:[1,0,0]
	v_mov_b32_e32 v39, v5
	v_pk_add_f32 v[40:41], v[20:21], v[24:25] op_sel:[0,1] op_sel_hi:[1,0]
	v_pk_add_f32 v[20:21], v[20:21], v[24:25] op_sel:[0,1] op_sel_hi:[1,0] neg_lo:[0,1] neg_hi:[0,1]
	v_fmamk_f32 v24, v40, 0x3ec3ef15, v38
	v_mov_b32_e32 v41, v21
	v_pk_fma_f32 v[0:1], v[0:1], 2.0, v[40:41] op_sel_hi:[1,0,1] neg_lo:[0,0,1] neg_hi:[0,0,1]
	v_pk_fma_f32 v[8:9], v[8:9], 2.0, v[38:39] op_sel_hi:[1,0,1] neg_lo:[0,0,1] neg_hi:[0,0,1]
	v_fmamk_f32 v4, v21, 0x3ec3ef15, v5
	v_fmac_f32_e32 v24, 0x3f6c835e, v21
	v_pk_mul_f32 v[20:21], v[0:1], s[6:7] op_sel_hi:[1,0]
	v_pk_fma_f32 v[0:1], v[0:1], s[8:9], v[8:9] op_sel_hi:[1,0,1] neg_lo:[1,0,0] neg_hi:[1,0,0]
	v_fmamk_f32 v25, v40, 0xbf6c835e, v4
	v_fma_f32 v4, v38, 2.0, -v24
	v_pk_add_f32 v[38:39], v[0:1], v[20:21] op_sel:[0,1] op_sel_hi:[1,0]
	v_pk_add_f32 v[0:1], v[0:1], v[20:21] op_sel:[0,1] op_sel_hi:[1,0] neg_lo:[0,1] neg_hi:[0,1]
	v_pk_add_f32 v[20:21], v[28:29], v[26:27] op_sel:[0,1] op_sel_hi:[1,0] neg_lo:[0,1] neg_hi:[0,1]
	v_mov_b32_e32 v39, v1
	v_pk_fma_f32 v[0:1], v[8:9], 2.0, v[38:39] op_sel_hi:[1,0,1] neg_lo:[0,0,1] neg_hi:[0,0,1]
	v_pk_add_f32 v[8:9], v[28:29], v[26:27] op_sel:[0,1] op_sel_hi:[1,0]
	v_pk_add_f32 v[26:27], v[36:37], v[32:33] op_sel:[0,1] op_sel_hi:[1,0] neg_lo:[0,1] neg_hi:[0,1]
	v_mov_b32_e32 v9, v21
	v_pk_add_f32 v[20:21], v[36:37], v[32:33] op_sel:[0,1] op_sel_hi:[1,0]
	v_pk_fma_f32 v[28:29], v[28:29], 2.0, v[8:9] op_sel_hi:[1,0,1] neg_lo:[0,0,1] neg_hi:[0,0,1]
	v_mov_b32_e32 v21, v27
	v_pk_fma_f32 v[26:27], v[36:37], 2.0, v[20:21] op_sel_hi:[1,0,1] neg_lo:[0,0,1] neg_hi:[0,0,1]
	v_fma_f32 v5, v5, 2.0, -v25
	v_pk_mul_f32 v[32:33], v[26:27], s[0:1] op_sel_hi:[1,0]
	v_pk_fma_f32 v[26:27], v[26:27], s[0:1], v[28:29] op_sel_hi:[1,0,1] neg_lo:[1,0,0] neg_hi:[1,0,0]
	s_nop 0
	v_pk_add_f32 v[36:37], v[26:27], v[32:33] op_sel:[0,1] op_sel_hi:[1,0]
	v_pk_add_f32 v[26:27], v[26:27], v[32:33] op_sel:[0,1] op_sel_hi:[1,0] neg_lo:[0,1] neg_hi:[0,1]
	s_nop 0
	v_mov_b32_e32 v37, v27
	v_pk_fma_f32 v[26:27], v[28:29], 2.0, v[36:37] op_sel_hi:[1,0,1] neg_lo:[0,0,1] neg_hi:[0,0,1]
	ds_write2_b64 v62, v[0:1], v[26:27] offset0:11 offset1:22
	v_pk_mul_f32 v[0:1], v[18:19], s[0:1] op_sel_hi:[1,0]
	v_pk_fma_f32 v[18:19], v[18:19], s[0:1], v[2:3] op_sel_hi:[1,0,1]
	s_nop 0
	v_pk_add_f32 v[26:27], v[18:19], v[0:1] op_sel:[0,1] op_sel_hi:[1,0]
	v_pk_add_f32 v[0:1], v[18:19], v[0:1] op_sel:[0,1] op_sel_hi:[1,0] neg_lo:[0,1] neg_hi:[0,1]
	v_pk_mul_f32 v[18:19], v[6:7], s[0:1] op_sel_hi:[1,0]
	v_pk_fma_f32 v[6:7], v[6:7], s[0:1], v[10:11] op_sel_hi:[1,0,1]
	v_mov_b32_e32 v27, v1
	v_pk_add_f32 v[28:29], v[6:7], v[18:19] op_sel:[0,1] op_sel_hi:[1,0]
	v_pk_add_f32 v[6:7], v[6:7], v[18:19] op_sel:[0,1] op_sel_hi:[1,0] neg_lo:[0,1] neg_hi:[0,1]
	v_fmamk_f32 v18, v28, 0x3f6c835e, v26
	v_mov_b32_e32 v29, v7
	v_fmamk_f32 v0, v7, 0x3f6c835e, v1
	v_fmac_f32_e32 v18, 0x3ec3ef15, v7
	v_pk_fma_f32 v[6:7], v[10:11], 2.0, v[28:29] op_sel_hi:[1,0,1] neg_lo:[0,0,1] neg_hi:[0,0,1]
	v_pk_fma_f32 v[2:3], v[2:3], 2.0, v[26:27] op_sel_hi:[1,0,1] neg_lo:[0,0,1] neg_hi:[0,0,1]
	v_pk_mul_f32 v[10:11], v[6:7], s[8:9] op_sel_hi:[1,0]
	v_pk_fma_f32 v[6:7], v[6:7], s[6:7], v[2:3] op_sel_hi:[1,0,1] neg_lo:[1,0,0] neg_hi:[1,0,0]
	v_fmamk_f32 v19, v28, 0xbec3ef15, v0
	v_fma_f32 v0, v26, 2.0, -v18
	v_pk_add_f32 v[26:27], v[6:7], v[10:11] op_sel:[0,1] op_sel_hi:[1,0]
	v_pk_add_f32 v[6:7], v[6:7], v[10:11] op_sel:[0,1] op_sel_hi:[1,0] neg_lo:[0,1] neg_hi:[0,1]
	v_pk_add_f32 v[10:11], v[22:23], v[30:31] op_sel:[0,1] op_sel_hi:[1,0] neg_lo:[0,1] neg_hi:[0,1]
	v_mov_b32_e32 v27, v7
	v_pk_add_f32 v[6:7], v[22:23], v[30:31] op_sel:[0,1] op_sel_hi:[1,0]
	v_pk_fma_f32 v[2:3], v[2:3], 2.0, v[26:27] op_sel_hi:[1,0,1] neg_lo:[0,0,1] neg_hi:[0,0,1]
	v_mov_b32_e32 v7, v11
	v_pk_fma_f32 v[10:11], v[22:23], 2.0, v[6:7] op_sel_hi:[1,0,1] neg_lo:[0,0,1] neg_hi:[0,0,1]
	ds_write2_b64 v62, v[2:3], v[10:11] offset0:33 offset1:44
	v_pk_mul_f32 v[2:3], v[20:21], s[0:1] op_sel_hi:[1,0]
	v_pk_fma_f32 v[10:11], v[20:21], s[0:1], v[8:9] op_sel_hi:[1,0,1]
	v_fma_f32 v1, v1, 2.0, -v19
	v_pk_add_f32 v[20:21], v[10:11], v[2:3] op_sel:[0,1] op_sel_hi:[1,0]
	v_pk_add_f32 v[2:3], v[10:11], v[2:3] op_sel:[0,1] op_sel_hi:[1,0] neg_lo:[0,1] neg_hi:[0,1]
	s_nop 0
	v_mov_b32_e32 v21, v3
	v_pk_fma_f32 v[2:3], v[8:9], 2.0, v[20:21] op_sel_hi:[1,0,1] neg_lo:[0,0,1] neg_hi:[0,0,1]
	ds_write2_b64 v62, v[4:5], v[2:3] offset0:55 offset1:66
	ds_write2_b64 v62, v[0:1], v[34:35] offset0:77 offset1:88
	;; [unrolled: 1-line block ×5, first 2 shown]
	ds_write_b64 v62, v[18:19] offset:1320
.LBB0_15:
	s_or_b64 exec, exec, s[2:3]
	s_waitcnt lgkmcnt(0)
	; wave barrier
	s_waitcnt lgkmcnt(0)
	ds_read_b64 v[2:3], v17
	v_sub_u32_e32 v8, v15, v16
	v_cmp_ne_u32_e64 s[0:1], 0, v14
                                        ; implicit-def: $vgpr6_vgpr7
                                        ; implicit-def: $vgpr5
                                        ; implicit-def: $vgpr0_vgpr1
	s_and_saveexec_b64 s[2:3], s[0:1]
	s_xor_b64 s[0:1], exec, s[2:3]
	s_cbranch_execz .LBB0_17
; %bb.16:
	global_load_dwordx2 v[0:1], v16, s[4:5] offset:1320
	ds_read_b64 v[4:5], v8 offset:1408
	v_mov_b32_e32 v7, 0.5
	v_mov_b32_e32 v10, v7
	v_mov_b32_e32 v15, 0
	s_waitcnt lgkmcnt(0)
	v_pk_add_f32 v[18:19], v[4:5], v[2:3]
	v_pk_add_f32 v[2:3], v[2:3], v[4:5] neg_lo:[0,1] neg_hi:[0,1]
	v_mov_b32_e32 v4, v19
	v_mov_b32_e32 v5, v2
	v_pk_mul_f32 v[20:21], v[4:5], 0.5 op_sel_hi:[1,0]
	s_waitcnt vmcnt(0)
	v_mov_b32_e32 v6, v1
	v_mov_b32_e32 v2, v21
	;; [unrolled: 1-line block ×4, first 2 shown]
	v_pk_mul_f32 v[2:3], v[6:7], v[2:3]
	v_pk_mul_f32 v[4:5], v[0:1], v[20:21] op_sel_hi:[0,1]
	v_pk_fma_f32 v[6:7], v[18:19], v[10:11], v[2:3]
	v_pk_fma_f32 v[2:3], v[18:19], v[10:11], v[2:3] neg_lo:[0,0,1] neg_hi:[0,0,1]
	v_add_f32_e32 v4, v4, v6
	v_sub_f32_e32 v5, v7, v5
	v_pk_fma_f32 v[6:7], v[0:1], v[20:21], v[2:3] op_sel_hi:[0,1,1] neg_lo:[1,0,0] neg_hi:[1,0,0]
	ds_write_b32 v17, v4
	v_mov_b64_e32 v[0:1], v[14:15]
                                        ; implicit-def: $vgpr2_vgpr3
                                        ; implicit-def: $vgpr15
.LBB0_17:
	s_andn2_saveexec_b64 s[0:1], s[0:1]
	s_cbranch_execz .LBB0_19
; %bb.18:
	ds_read_b32 v1, v15 offset:708
	s_waitcnt lgkmcnt(1)
	v_mov_b32_e32 v0, v3
	v_add_f32_e32 v4, v3, v2
	ds_write_b32 v17, v4
	s_waitcnt lgkmcnt(1)
	v_pk_add_f32 v[4:5], v[2:3], v[0:1] neg_lo:[0,1] neg_hi:[0,1]
	v_xor_b32_e32 v0, 0x80000000, v1
	v_mov_b32_e32 v5, 0
	ds_write_b32 v15, v0 offset:708
	v_mov_b64_e32 v[0:1], 0
	v_mov_b64_e32 v[6:7], v[4:5]
.LBB0_19:
	s_or_b64 exec, exec, s[0:1]
	s_add_u32 s0, s4, 0x528
	s_addc_u32 s1, s5, 0
	s_waitcnt lgkmcnt(0)
	v_lshl_add_u64 v[2:3], v[0:1], 3, s[0:1]
	global_load_dwordx2 v[10:11], v[2:3], off offset:128
	global_load_dwordx2 v[18:19], v[2:3], off offset:256
	;; [unrolled: 1-line block ×4, first 2 shown]
	ds_write_b32 v17, v5 offset:4
	ds_write_b64 v8, v[6:7] offset:1408
	ds_read_b64 v[6:7], v17 offset:128
	ds_read_b64 v[24:25], v8 offset:1280
	v_mov_b32_e32 v5, 0.5
	v_mov_b32_e32 v26, v5
	v_or_b32_e32 v9, 0x50, v14
	s_movk_i32 s0, 0x58
	s_waitcnt lgkmcnt(0)
	v_pk_add_f32 v[28:29], v[6:7], v[24:25]
	v_pk_add_f32 v[6:7], v[6:7], v[24:25] neg_lo:[0,1] neg_hi:[0,1]
	v_mov_b32_e32 v24, v29
	v_mov_b32_e32 v25, v6
	v_pk_mul_f32 v[24:25], v[24:25], 0.5 op_sel_hi:[1,0]
	v_cmp_gt_u32_e64 s[0:1], s0, v9
	v_mov_b32_e32 v6, v25
	v_mov_b32_e32 v29, v24
	s_waitcnt vmcnt(3)
	v_mov_b32_e32 v4, v11
	v_mov_b32_e32 v27, v11
	v_pk_mul_f32 v[6:7], v[4:5], v[6:7]
	s_waitcnt vmcnt(2)
	v_mov_b32_e32 v4, v19
	v_pk_fma_f32 v[30:31], v[28:29], v[26:27], v[6:7]
	v_pk_fma_f32 v[6:7], v[28:29], v[26:27], v[6:7] neg_lo:[0,0,1] neg_hi:[0,0,1]
	v_pk_fma_f32 v[26:27], v[10:11], v[24:25], v[30:31]
	v_pk_fma_f32 v[28:29], v[10:11], v[24:25], v[30:31] op_sel_hi:[0,1,1] neg_lo:[1,0,0] neg_hi:[1,0,0]
	v_mov_b32_e32 v27, v29
	v_pk_fma_f32 v[6:7], v[10:11], v[24:25], v[6:7] op_sel_hi:[0,1,1] neg_lo:[1,0,0] neg_hi:[1,0,0]
	ds_write_b64 v17, v[26:27] offset:128
	ds_write_b64 v8, v[6:7] offset:1280
	ds_read_b64 v[6:7], v17 offset:256
	ds_read_b64 v[10:11], v8 offset:1152
	v_mov_b32_e32 v24, v5
	v_mov_b32_e32 v25, v19
	s_waitcnt lgkmcnt(0)
	v_pk_add_f32 v[26:27], v[6:7], v[10:11]
	v_pk_add_f32 v[6:7], v[6:7], v[10:11] neg_lo:[0,1] neg_hi:[0,1]
	v_mov_b32_e32 v10, v27
	v_mov_b32_e32 v11, v6
	v_pk_mul_f32 v[10:11], v[10:11], 0.5 op_sel_hi:[1,0]
	s_nop 0
	v_mov_b32_e32 v6, v11
	v_mov_b32_e32 v27, v10
	v_pk_mul_f32 v[6:7], v[4:5], v[6:7]
	s_waitcnt vmcnt(1)
	v_mov_b32_e32 v4, v21
	v_pk_fma_f32 v[28:29], v[26:27], v[24:25], v[6:7]
	v_pk_fma_f32 v[6:7], v[26:27], v[24:25], v[6:7] neg_lo:[0,0,1] neg_hi:[0,0,1]
	v_pk_fma_f32 v[24:25], v[18:19], v[10:11], v[28:29]
	v_pk_fma_f32 v[26:27], v[18:19], v[10:11], v[28:29] op_sel_hi:[0,1,1] neg_lo:[1,0,0] neg_hi:[1,0,0]
	v_mov_b32_e32 v25, v27
	v_pk_fma_f32 v[6:7], v[18:19], v[10:11], v[6:7] op_sel_hi:[0,1,1] neg_lo:[1,0,0] neg_hi:[1,0,0]
	ds_write_b64 v17, v[24:25] offset:256
	ds_write_b64 v8, v[6:7] offset:1152
	ds_read_b64 v[6:7], v17 offset:384
	ds_read_b64 v[10:11], v8 offset:1024
	v_mov_b32_e32 v18, v5
	v_mov_b32_e32 v19, v21
	s_waitcnt lgkmcnt(0)
	v_pk_add_f32 v[24:25], v[6:7], v[10:11]
	v_pk_add_f32 v[6:7], v[6:7], v[10:11] neg_lo:[0,1] neg_hi:[0,1]
	v_mov_b32_e32 v10, v25
	v_mov_b32_e32 v11, v6
	v_pk_mul_f32 v[10:11], v[10:11], 0.5 op_sel_hi:[1,0]
	s_nop 0
	;; [unrolled: 24-line block ×3, first 2 shown]
	v_mov_b32_e32 v6, v11
	v_mov_b32_e32 v21, v10
	v_pk_mul_f32 v[6:7], v[4:5], v[6:7]
	s_nop 0
	v_pk_fma_f32 v[24:25], v[20:21], v[18:19], v[6:7]
	v_pk_fma_f32 v[6:7], v[20:21], v[18:19], v[6:7] neg_lo:[0,0,1] neg_hi:[0,0,1]
	v_pk_fma_f32 v[18:19], v[22:23], v[10:11], v[24:25]
	v_pk_fma_f32 v[20:21], v[22:23], v[10:11], v[24:25] op_sel_hi:[0,1,1] neg_lo:[1,0,0] neg_hi:[1,0,0]
	v_mov_b32_e32 v19, v21
	v_pk_fma_f32 v[6:7], v[22:23], v[10:11], v[6:7] op_sel_hi:[0,1,1] neg_lo:[1,0,0] neg_hi:[1,0,0]
	ds_write_b64 v17, v[18:19] offset:512
	ds_write_b64 v8, v[6:7] offset:896
	s_and_saveexec_b64 s[2:3], s[0:1]
	s_cbranch_execz .LBB0_21
; %bb.20:
	global_load_dwordx2 v[2:3], v[2:3], off offset:640
	ds_read_b64 v[6:7], v17 offset:640
	ds_read_b64 v[10:11], v8 offset:768
	v_mov_b32_e32 v18, v5
	s_waitcnt lgkmcnt(0)
	v_pk_add_f32 v[20:21], v[6:7], v[10:11]
	v_pk_add_f32 v[6:7], v[6:7], v[10:11] neg_lo:[0,1] neg_hi:[0,1]
	v_mov_b32_e32 v10, v21
	v_mov_b32_e32 v11, v6
	v_pk_mul_f32 v[10:11], v[10:11], 0.5 op_sel_hi:[1,0]
	s_waitcnt vmcnt(0)
	v_mov_b32_e32 v4, v3
	v_mov_b32_e32 v6, v11
	;; [unrolled: 1-line block ×4, first 2 shown]
	v_pk_mul_f32 v[4:5], v[4:5], v[6:7]
	s_nop 0
	v_pk_fma_f32 v[6:7], v[20:21], v[18:19], v[4:5]
	v_pk_fma_f32 v[4:5], v[20:21], v[18:19], v[4:5] neg_lo:[0,0,1] neg_hi:[0,0,1]
	v_pk_fma_f32 v[18:19], v[2:3], v[10:11], v[6:7]
	v_pk_fma_f32 v[6:7], v[2:3], v[10:11], v[6:7] op_sel_hi:[0,1,1] neg_lo:[1,0,0] neg_hi:[1,0,0]
	v_mov_b32_e32 v19, v7
	v_pk_fma_f32 v[2:3], v[2:3], v[10:11], v[4:5] op_sel_hi:[0,1,1] neg_lo:[1,0,0] neg_hi:[1,0,0]
	ds_write_b64 v17, v[18:19] offset:640
	ds_write_b64 v8, v[2:3] offset:768
.LBB0_21:
	s_or_b64 exec, exec, s[2:3]
	s_waitcnt lgkmcnt(0)
	; wave barrier
	s_waitcnt lgkmcnt(0)
	s_and_saveexec_b64 s[0:1], vcc
	s_cbranch_execz .LBB0_24
; %bb.22:
	ds_read2_b64 v[2:5], v17 offset1:16
	ds_read2_b64 v[6:9], v17 offset0:32 offset1:48
	v_lshl_add_u64 v[10:11], v[0:1], 3, v[12:13]
	ds_read2_b64 v[18:21], v17 offset0:64 offset1:80
	v_cmp_eq_u32_e32 vcc, 15, v14
	s_waitcnt lgkmcnt(2)
	global_store_dwordx2 v[10:11], v[2:3], off
	global_store_dwordx2 v[10:11], v[4:5], off offset:128
	s_waitcnt lgkmcnt(1)
	global_store_dwordx2 v[10:11], v[6:7], off offset:256
	global_store_dwordx2 v[10:11], v[8:9], off offset:384
	ds_read2_b64 v[0:3], v17 offset0:96 offset1:112
	ds_read2_b64 v[4:7], v17 offset0:128 offset1:144
	ds_read_b64 v[8:9], v17 offset:1280
	s_waitcnt lgkmcnt(3)
	global_store_dwordx2 v[10:11], v[18:19], off offset:512
	global_store_dwordx2 v[10:11], v[20:21], off offset:640
	s_waitcnt lgkmcnt(2)
	global_store_dwordx2 v[10:11], v[0:1], off offset:768
	global_store_dwordx2 v[10:11], v[2:3], off offset:896
	;; [unrolled: 3-line block ×3, first 2 shown]
	s_waitcnt lgkmcnt(0)
	global_store_dwordx2 v[10:11], v[8:9], off offset:1280
	s_and_b64 exec, exec, vcc
	s_cbranch_execz .LBB0_24
; %bb.23:
	ds_read_b64 v[0:1], v17 offset:1288
	s_waitcnt lgkmcnt(0)
	global_store_dwordx2 v[12:13], v[0:1], off offset:1408
.LBB0_24:
	s_endpgm
	.section	.rodata,"a",@progbits
	.p2align	6, 0x0
	.amdhsa_kernel fft_rtc_back_len176_factors_11_16_wgs_64_tpt_16_halfLds_sp_ip_CI_unitstride_sbrr_R2C_dirReg
		.amdhsa_group_segment_fixed_size 0
		.amdhsa_private_segment_fixed_size 0
		.amdhsa_kernarg_size 88
		.amdhsa_user_sgpr_count 2
		.amdhsa_user_sgpr_dispatch_ptr 0
		.amdhsa_user_sgpr_queue_ptr 0
		.amdhsa_user_sgpr_kernarg_segment_ptr 1
		.amdhsa_user_sgpr_dispatch_id 0
		.amdhsa_user_sgpr_kernarg_preload_length 0
		.amdhsa_user_sgpr_kernarg_preload_offset 0
		.amdhsa_user_sgpr_private_segment_size 0
		.amdhsa_uses_dynamic_stack 0
		.amdhsa_enable_private_segment 0
		.amdhsa_system_sgpr_workgroup_id_x 1
		.amdhsa_system_sgpr_workgroup_id_y 0
		.amdhsa_system_sgpr_workgroup_id_z 0
		.amdhsa_system_sgpr_workgroup_info 0
		.amdhsa_system_vgpr_workitem_id 0
		.amdhsa_next_free_vgpr 116
		.amdhsa_next_free_sgpr 32
		.amdhsa_accum_offset 116
		.amdhsa_reserve_vcc 1
		.amdhsa_float_round_mode_32 0
		.amdhsa_float_round_mode_16_64 0
		.amdhsa_float_denorm_mode_32 3
		.amdhsa_float_denorm_mode_16_64 3
		.amdhsa_dx10_clamp 1
		.amdhsa_ieee_mode 1
		.amdhsa_fp16_overflow 0
		.amdhsa_tg_split 0
		.amdhsa_exception_fp_ieee_invalid_op 0
		.amdhsa_exception_fp_denorm_src 0
		.amdhsa_exception_fp_ieee_div_zero 0
		.amdhsa_exception_fp_ieee_overflow 0
		.amdhsa_exception_fp_ieee_underflow 0
		.amdhsa_exception_fp_ieee_inexact 0
		.amdhsa_exception_int_div_zero 0
	.end_amdhsa_kernel
	.text
.Lfunc_end0:
	.size	fft_rtc_back_len176_factors_11_16_wgs_64_tpt_16_halfLds_sp_ip_CI_unitstride_sbrr_R2C_dirReg, .Lfunc_end0-fft_rtc_back_len176_factors_11_16_wgs_64_tpt_16_halfLds_sp_ip_CI_unitstride_sbrr_R2C_dirReg
                                        ; -- End function
	.section	.AMDGPU.csdata,"",@progbits
; Kernel info:
; codeLenInByte = 6948
; NumSgprs: 38
; NumVgprs: 116
; NumAgprs: 0
; TotalNumVgprs: 116
; ScratchSize: 0
; MemoryBound: 0
; FloatMode: 240
; IeeeMode: 1
; LDSByteSize: 0 bytes/workgroup (compile time only)
; SGPRBlocks: 4
; VGPRBlocks: 14
; NumSGPRsForWavesPerEU: 38
; NumVGPRsForWavesPerEU: 116
; AccumOffset: 116
; Occupancy: 4
; WaveLimiterHint : 1
; COMPUTE_PGM_RSRC2:SCRATCH_EN: 0
; COMPUTE_PGM_RSRC2:USER_SGPR: 2
; COMPUTE_PGM_RSRC2:TRAP_HANDLER: 0
; COMPUTE_PGM_RSRC2:TGID_X_EN: 1
; COMPUTE_PGM_RSRC2:TGID_Y_EN: 0
; COMPUTE_PGM_RSRC2:TGID_Z_EN: 0
; COMPUTE_PGM_RSRC2:TIDIG_COMP_CNT: 0
; COMPUTE_PGM_RSRC3_GFX90A:ACCUM_OFFSET: 28
; COMPUTE_PGM_RSRC3_GFX90A:TG_SPLIT: 0
	.text
	.p2alignl 6, 3212836864
	.fill 256, 4, 3212836864
	.type	__hip_cuid_80232430868c84a4,@object ; @__hip_cuid_80232430868c84a4
	.section	.bss,"aw",@nobits
	.globl	__hip_cuid_80232430868c84a4
__hip_cuid_80232430868c84a4:
	.byte	0                               ; 0x0
	.size	__hip_cuid_80232430868c84a4, 1

	.ident	"AMD clang version 19.0.0git (https://github.com/RadeonOpenCompute/llvm-project roc-6.4.0 25133 c7fe45cf4b819c5991fe208aaa96edf142730f1d)"
	.section	".note.GNU-stack","",@progbits
	.addrsig
	.addrsig_sym __hip_cuid_80232430868c84a4
	.amdgpu_metadata
---
amdhsa.kernels:
  - .agpr_count:     0
    .args:
      - .actual_access:  read_only
        .address_space:  global
        .offset:         0
        .size:           8
        .value_kind:     global_buffer
      - .offset:         8
        .size:           8
        .value_kind:     by_value
      - .actual_access:  read_only
        .address_space:  global
        .offset:         16
        .size:           8
        .value_kind:     global_buffer
      - .actual_access:  read_only
        .address_space:  global
        .offset:         24
        .size:           8
        .value_kind:     global_buffer
      - .offset:         32
        .size:           8
        .value_kind:     by_value
      - .actual_access:  read_only
        .address_space:  global
        .offset:         40
        .size:           8
        .value_kind:     global_buffer
      - .actual_access:  read_only
        .address_space:  global
        .offset:         48
        .size:           8
        .value_kind:     global_buffer
      - .offset:         56
        .size:           4
        .value_kind:     by_value
      - .actual_access:  read_only
        .address_space:  global
        .offset:         64
        .size:           8
        .value_kind:     global_buffer
      - .actual_access:  read_only
        .address_space:  global
        .offset:         72
        .size:           8
        .value_kind:     global_buffer
      - .address_space:  global
        .offset:         80
        .size:           8
        .value_kind:     global_buffer
    .group_segment_fixed_size: 0
    .kernarg_segment_align: 8
    .kernarg_segment_size: 88
    .language:       OpenCL C
    .language_version:
      - 2
      - 0
    .max_flat_workgroup_size: 64
    .name:           fft_rtc_back_len176_factors_11_16_wgs_64_tpt_16_halfLds_sp_ip_CI_unitstride_sbrr_R2C_dirReg
    .private_segment_fixed_size: 0
    .sgpr_count:     38
    .sgpr_spill_count: 0
    .symbol:         fft_rtc_back_len176_factors_11_16_wgs_64_tpt_16_halfLds_sp_ip_CI_unitstride_sbrr_R2C_dirReg.kd
    .uniform_work_group_size: 1
    .uses_dynamic_stack: false
    .vgpr_count:     116
    .vgpr_spill_count: 0
    .wavefront_size: 64
amdhsa.target:   amdgcn-amd-amdhsa--gfx950
amdhsa.version:
  - 1
  - 2
...

	.end_amdgpu_metadata
